;; amdgpu-corpus repo=ROCm/aiter kind=compiled arch=gfx90a opt=O3
	.text
	.amdgcn_target "amdgcn-amd-amdhsa--gfx90a"
	.amdhsa_code_object_version 6
	.section	.text._Z18LLGemm_Silu_kernelILi2EEvP15HIP_vector_typeIfLj4EEP7__half2PDF16_i,"axG",@progbits,_Z18LLGemm_Silu_kernelILi2EEvP15HIP_vector_typeIfLj4EEP7__half2PDF16_i,comdat
	.protected	_Z18LLGemm_Silu_kernelILi2EEvP15HIP_vector_typeIfLj4EEP7__half2PDF16_i ; -- Begin function _Z18LLGemm_Silu_kernelILi2EEvP15HIP_vector_typeIfLj4EEP7__half2PDF16_i
	.globl	_Z18LLGemm_Silu_kernelILi2EEvP15HIP_vector_typeIfLj4EEP7__half2PDF16_i
	.p2align	8
	.type	_Z18LLGemm_Silu_kernelILi2EEvP15HIP_vector_typeIfLj4EEP7__half2PDF16_i,@function
_Z18LLGemm_Silu_kernelILi2EEvP15HIP_vector_typeIfLj4EEP7__half2PDF16_i: ; @_Z18LLGemm_Silu_kernelILi2EEvP15HIP_vector_typeIfLj4EEP7__half2PDF16_i
; %bb.0:
	s_load_dword s0, s[4:5], 0x2c
	s_load_dword s1, s[4:5], 0x18
	s_load_dwordx4 s[8:11], s[4:5], 0x0
	s_and_b32 s2, s6, 0x7fffffff
	v_mov_b32_e32 v7, 0
	s_waitcnt lgkmcnt(0)
	s_and_b32 s3, s0, 0xffff
	s_mul_i32 s0, s2, s3
	s_add_i32 s1, s2, s1
	v_add_u32_e32 v6, s0, v0
	s_mul_i32 s1, s1, s3
	v_lshlrev_b64 v[2:3], 4, v[6:7]
	v_mov_b32_e32 v1, s9
	v_add_co_u32_e32 v2, vcc, s8, v2
	v_add_u32_e32 v6, s1, v0
	v_addc_co_u32_e32 v3, vcc, v1, v3, vcc
	v_lshlrev_b64 v[10:11], 4, v[6:7]
	v_mov_b32_e32 v12, s9
	v_lshlrev_b32_e32 v1, 4, v0
	v_add_co_u32_e32 v10, vcc, s8, v10
	global_load_dwordx4 v[2:5], v[2:3], off glc slc
	v_addc_co_u32_e32 v11, vcc, v12, v11, vcc
	global_load_dwordx4 v[10:13], v[10:11], off glc slc
	v_mbcnt_lo_u32_b32 v14, -1, 0
	global_load_dwordx4 v[6:9], v1, s[10:11]
	v_mbcnt_hi_u32_b32 v14, -1, v14
	v_and_b32_e32 v15, 64, v14
	v_xor_b32_e32 v16, 32, v14
	v_add_u32_e32 v15, 64, v15
	v_cmp_lt_i32_e32 vcc, v16, v15
	s_waitcnt vmcnt(0)
	v_pk_mul_f16 v2, v6, v2
	v_pk_fma_f16 v2, v3, v7, v2
	v_pk_mul_f16 v3, v6, v10
	v_pk_fma_f16 v2, v4, v8, v2
	v_pk_fma_f16 v3, v11, v7, v3
	;; [unrolled: 1-line block ×5, first 2 shown]
	v_cvt_f32_f16_e32 v2, v4
	v_cvt_f32_f16_sdwa v4, v4 dst_sel:DWORD dst_unused:UNUSED_PAD src0_sel:WORD_1
	v_cvt_f32_f16_e32 v3, v5
	v_cvt_f32_f16_sdwa v5, v5 dst_sel:DWORD dst_unused:UNUSED_PAD src0_sel:WORD_1
	v_cndmask_b32_e32 v6, v14, v16, vcc
	v_lshlrev_b32_e32 v7, 2, v6
	v_pk_add_f32 v[2:3], v[2:3], v[4:5]
	ds_bpermute_b32 v6, v7, v2
	ds_bpermute_b32 v7, v7, v3
	v_xor_b32_e32 v4, 16, v14
	v_cmp_lt_i32_e32 vcc, v4, v15
	v_cndmask_b32_e32 v4, v14, v4, vcc
	v_lshlrev_b32_e32 v4, 2, v4
	s_waitcnt lgkmcnt(0)
	v_pk_add_f32 v[2:3], v[2:3], v[6:7]
	ds_bpermute_b32 v6, v4, v2
	ds_bpermute_b32 v7, v4, v3
	v_xor_b32_e32 v5, 8, v14
	v_cmp_lt_i32_e32 vcc, v5, v15
	v_cndmask_b32_e32 v5, v14, v5, vcc
	v_lshlrev_b32_e32 v5, 2, v5
	s_waitcnt lgkmcnt(0)
	;; [unrolled: 8-line block ×5, first 2 shown]
	v_pk_add_f32 v[2:3], v[2:3], v[10:11]
	ds_bpermute_b32 v9, v8, v2
	ds_bpermute_b32 v10, v8, v3
	v_and_b32_e32 v11, 63, v0
	v_cmp_gt_u32_e32 vcc, 2, v11
	s_and_saveexec_b64 s[0:1], vcc
	s_cbranch_execz .LBB0_2
; %bb.1:
	v_lshrrev_b32_e32 v12, 4, v0
	v_cmp_eq_u32_e32 vcc, 1, v11
	v_and_b32_e32 v12, 60, v12
	s_waitcnt lgkmcnt(0)
	v_cndmask_b32_e32 v9, v9, v10, vcc
	v_cndmask_b32_e32 v2, v2, v3, vcc
	v_lshl_or_b32 v12, v11, 8, v12
	v_add_f32_e32 v2, v2, v9
	ds_write_b32 v12, v2
.LBB0_2:
	s_or_b64 exec, exec, s[0:1]
	v_cmp_gt_u32_e32 vcc, 32, v0
	s_waitcnt lgkmcnt(0)
	s_barrier
	s_and_saveexec_b64 s[0:1], vcc
	s_cbranch_execz .LBB0_7
; %bb.3:
	s_lshr_b32 s0, s3, 6
	v_and_b32_e32 v3, 15, v0
	v_cmp_gt_u32_e32 vcc, s0, v3
	v_mov_b32_e32 v2, 0
	s_and_saveexec_b64 s[0:1], vcc
	s_cbranch_execz .LBB0_5
; %bb.4:
	v_lshlrev_b32_e32 v2, 2, v3
	s_movk_i32 s3, 0x3f00
	v_and_or_b32 v1, v1, s3, v2
	ds_read_b32 v2, v1
.LBB0_5:
	s_or_b64 exec, exec, s[0:1]
	s_waitcnt lgkmcnt(0)
	ds_bpermute_b32 v1, v5, v2
	v_cmp_eq_u32_e32 vcc, 0, v0
	s_waitcnt lgkmcnt(0)
	v_add_f32_e32 v1, v2, v1
	ds_bpermute_b32 v2, v6, v1
	s_waitcnt lgkmcnt(0)
	v_add_f32_e32 v1, v1, v2
	ds_bpermute_b32 v2, v7, v1
	;; [unrolled: 3-line block ×4, first 2 shown]
	s_and_b64 exec, exec, vcc
	s_cbranch_execz .LBB0_7
; %bb.6:
	v_mul_f32_e32 v0, 0xbfb8aa3b, v1
	s_mov_b32 s0, 0xbfb8aa3b
	v_rndne_f32_e32 v3, v0
	v_sub_f32_e32 v4, v0, v3
	v_fma_f32 v0, v1, s0, -v0
	v_fmac_f32_e32 v0, 0xb2a5705f, v1
	v_add_f32_e32 v0, v4, v0
	v_exp_f32_e32 v0, v0
	v_cvt_i32_f32_e32 v3, v3
	s_mov_b32 s0, 0x42ce8ed0
	v_cmp_nlt_f32_e32 vcc, s0, v1
	s_mov_b32 s0, 0xc2b17218
	v_ldexp_f32 v0, v0, v3
	v_cndmask_b32_e32 v0, 0, v0, vcc
	v_mov_b32_e32 v3, 0x7f800000
	v_cmp_ngt_f32_e32 vcc, s0, v1
	v_cndmask_b32_e32 v0, v3, v0, vcc
	v_add_f32_e32 v0, 1.0, v0
	v_div_scale_f32 v3, s[0:1], v0, v0, v1
	v_rcp_f32_e32 v4, v3
	s_load_dwordx2 s[0:1], s[4:5], 0x10
	s_lshl_b32 s2, s2, 1
	v_fma_f32 v5, -v3, v4, 1.0
	v_fmac_f32_e32 v4, v5, v4
	v_div_scale_f32 v5, vcc, v1, v0, v1
	v_mul_f32_e32 v6, v5, v4
	v_fma_f32 v7, -v3, v6, v5
	v_fmac_f32_e32 v6, v7, v4
	v_fma_f32 v3, -v3, v6, v5
	v_div_fmas_f32 v3, v3, v4, v6
	v_div_fixup_f32 v0, v3, v0, v1
	s_waitcnt lgkmcnt(0)
	v_fma_mixlo_f16 v0, v0, v2, 0
	v_mov_b32_e32 v1, s2
	global_store_short v1, v0, s[0:1]
.LBB0_7:
	s_endpgm
	.section	.rodata,"a",@progbits
	.p2align	6, 0x0
	.amdhsa_kernel _Z18LLGemm_Silu_kernelILi2EEvP15HIP_vector_typeIfLj4EEP7__half2PDF16_i
		.amdhsa_group_segment_fixed_size 512
		.amdhsa_private_segment_fixed_size 0
		.amdhsa_kernarg_size 288
		.amdhsa_user_sgpr_count 6
		.amdhsa_user_sgpr_private_segment_buffer 1
		.amdhsa_user_sgpr_dispatch_ptr 0
		.amdhsa_user_sgpr_queue_ptr 0
		.amdhsa_user_sgpr_kernarg_segment_ptr 1
		.amdhsa_user_sgpr_dispatch_id 0
		.amdhsa_user_sgpr_flat_scratch_init 0
		.amdhsa_user_sgpr_kernarg_preload_length 0
		.amdhsa_user_sgpr_kernarg_preload_offset 0
		.amdhsa_user_sgpr_private_segment_size 0
		.amdhsa_uses_dynamic_stack 0
		.amdhsa_system_sgpr_private_segment_wavefront_offset 0
		.amdhsa_system_sgpr_workgroup_id_x 1
		.amdhsa_system_sgpr_workgroup_id_y 0
		.amdhsa_system_sgpr_workgroup_id_z 0
		.amdhsa_system_sgpr_workgroup_info 0
		.amdhsa_system_vgpr_workitem_id 0
		.amdhsa_next_free_vgpr 17
		.amdhsa_next_free_sgpr 12
		.amdhsa_accum_offset 20
		.amdhsa_reserve_vcc 1
		.amdhsa_reserve_flat_scratch 0
		.amdhsa_float_round_mode_32 0
		.amdhsa_float_round_mode_16_64 0
		.amdhsa_float_denorm_mode_32 3
		.amdhsa_float_denorm_mode_16_64 3
		.amdhsa_dx10_clamp 1
		.amdhsa_ieee_mode 1
		.amdhsa_fp16_overflow 0
		.amdhsa_tg_split 0
		.amdhsa_exception_fp_ieee_invalid_op 0
		.amdhsa_exception_fp_denorm_src 0
		.amdhsa_exception_fp_ieee_div_zero 0
		.amdhsa_exception_fp_ieee_overflow 0
		.amdhsa_exception_fp_ieee_underflow 0
		.amdhsa_exception_fp_ieee_inexact 0
		.amdhsa_exception_int_div_zero 0
	.end_amdhsa_kernel
	.section	.text._Z18LLGemm_Silu_kernelILi2EEvP15HIP_vector_typeIfLj4EEP7__half2PDF16_i,"axG",@progbits,_Z18LLGemm_Silu_kernelILi2EEvP15HIP_vector_typeIfLj4EEP7__half2PDF16_i,comdat
.Lfunc_end0:
	.size	_Z18LLGemm_Silu_kernelILi2EEvP15HIP_vector_typeIfLj4EEP7__half2PDF16_i, .Lfunc_end0-_Z18LLGemm_Silu_kernelILi2EEvP15HIP_vector_typeIfLj4EEP7__half2PDF16_i
                                        ; -- End function
	.section	.AMDGPU.csdata,"",@progbits
; Kernel info:
; codeLenInByte = 952
; NumSgprs: 16
; NumVgprs: 17
; NumAgprs: 0
; TotalNumVgprs: 17
; ScratchSize: 0
; MemoryBound: 0
; FloatMode: 240
; IeeeMode: 1
; LDSByteSize: 512 bytes/workgroup (compile time only)
; SGPRBlocks: 1
; VGPRBlocks: 2
; NumSGPRsForWavesPerEU: 16
; NumVGPRsForWavesPerEU: 17
; AccumOffset: 20
; Occupancy: 8
; WaveLimiterHint : 0
; COMPUTE_PGM_RSRC2:SCRATCH_EN: 0
; COMPUTE_PGM_RSRC2:USER_SGPR: 6
; COMPUTE_PGM_RSRC2:TRAP_HANDLER: 0
; COMPUTE_PGM_RSRC2:TGID_X_EN: 1
; COMPUTE_PGM_RSRC2:TGID_Y_EN: 0
; COMPUTE_PGM_RSRC2:TGID_Z_EN: 0
; COMPUTE_PGM_RSRC2:TIDIG_COMP_CNT: 0
; COMPUTE_PGM_RSRC3_GFX90A:ACCUM_OFFSET: 4
; COMPUTE_PGM_RSRC3_GFX90A:TG_SPLIT: 0
	.section	.text._Z18LLGemm_Silu_kernelILi4EEvP15HIP_vector_typeIfLj4EEP7__half2PDF16_i,"axG",@progbits,_Z18LLGemm_Silu_kernelILi4EEvP15HIP_vector_typeIfLj4EEP7__half2PDF16_i,comdat
	.protected	_Z18LLGemm_Silu_kernelILi4EEvP15HIP_vector_typeIfLj4EEP7__half2PDF16_i ; -- Begin function _Z18LLGemm_Silu_kernelILi4EEvP15HIP_vector_typeIfLj4EEP7__half2PDF16_i
	.globl	_Z18LLGemm_Silu_kernelILi4EEvP15HIP_vector_typeIfLj4EEP7__half2PDF16_i
	.p2align	8
	.type	_Z18LLGemm_Silu_kernelILi4EEvP15HIP_vector_typeIfLj4EEP7__half2PDF16_i,@function
_Z18LLGemm_Silu_kernelILi4EEvP15HIP_vector_typeIfLj4EEP7__half2PDF16_i: ; @_Z18LLGemm_Silu_kernelILi4EEvP15HIP_vector_typeIfLj4EEP7__half2PDF16_i
; %bb.0:
	s_load_dword s7, s[4:5], 0x2c
	s_load_dword s10, s[4:5], 0x18
	s_load_dwordx4 s[0:3], s[4:5], 0x0
	s_lshl_b32 s6, s6, 1
	s_and_b32 s8, s6, 0x7ffffffe
	s_waitcnt lgkmcnt(0)
	s_and_b32 s9, s7, 0xffff
	s_mul_i32 s7, s8, s9
	s_add_i32 s6, s8, s10
	v_add_u32_e32 v18, s7, v0
	v_mov_b32_e32 v19, 0
	v_lshlrev_b64 v[2:3], 4, v[18:19]
	s_mul_i32 s6, s6, s9
	v_mov_b32_e32 v1, s1
	v_add_co_u32_e32 v10, vcc, s0, v2
	v_add_u32_e32 v20, s6, v0
	v_mov_b32_e32 v21, v19
	v_addc_co_u32_e32 v11, vcc, v1, v3, vcc
	v_lshlrev_b64 v[2:3], 4, v[20:21]
	v_add_co_u32_e32 v12, vcc, s0, v2
	v_add_u32_e32 v18, s9, v18
	v_addc_co_u32_e32 v13, vcc, v1, v3, vcc
	global_load_dwordx4 v[2:5], v[10:11], off glc slc
	global_load_dwordx4 v[6:9], v[12:13], off glc slc
	v_lshlrev_b64 v[10:11], 4, v[18:19]
	v_add_co_u32_e32 v10, vcc, s0, v10
	v_add_u32_e32 v18, s9, v20
	v_addc_co_u32_e32 v11, vcc, v1, v11, vcc
	v_lshlrev_b32_e32 v1, 4, v0
	v_lshlrev_b64 v[18:19], 4, v[18:19]
	global_load_dwordx4 v[14:17], v1, s[2:3]
	v_mov_b32_e32 v20, s1
	v_add_co_u32_e32 v18, vcc, s0, v18
	global_load_dwordx4 v[10:13], v[10:11], off glc slc
	v_addc_co_u32_e32 v19, vcc, v20, v19, vcc
	global_load_dwordx4 v[18:21], v[18:19], off glc slc
	v_mbcnt_lo_u32_b32 v22, -1, 0
	v_mbcnt_hi_u32_b32 v22, -1, v22
	v_and_b32_e32 v23, 64, v22
	v_xor_b32_e32 v24, 32, v22
	v_add_u32_e32 v23, 64, v23
	v_cmp_lt_i32_e32 vcc, v24, v23
	v_cndmask_b32_e32 v24, v22, v24, vcc
	v_lshlrev_b32_e32 v24, 2, v24
	v_xor_b32_e32 v25, 16, v22
	v_cmp_lt_i32_e32 vcc, v25, v23
	v_cndmask_b32_e32 v25, v22, v25, vcc
	v_xor_b32_e32 v26, 8, v22
	v_cmp_lt_i32_e32 vcc, v26, v23
	v_cndmask_b32_e32 v26, v22, v26, vcc
	;; [unrolled: 3-line block ×4, first 2 shown]
	v_xor_b32_e32 v29, 1, v22
	v_cmp_lt_i32_e32 vcc, v29, v23
	s_waitcnt vmcnt(2)
	v_pk_mul_f16 v2, v14, v2
	v_pk_mul_f16 v6, v14, v6
	v_pk_fma_f16 v2, v3, v15, v2
	v_pk_fma_f16 v3, v7, v15, v6
	s_waitcnt vmcnt(1)
	v_pk_mul_f16 v6, v14, v10
	v_pk_fma_f16 v2, v4, v16, v2
	v_pk_fma_f16 v3, v8, v16, v3
	;; [unrolled: 1-line block ×3, first 2 shown]
	s_waitcnt vmcnt(0)
	v_pk_mul_f16 v6, v14, v18
	v_pk_fma_f16 v7, v9, v17, v3
	v_pk_fma_f16 v3, v19, v15, v6
	;; [unrolled: 1-line block ×7, first 2 shown]
	v_cvt_f32_f16_e32 v2, v5
	v_cvt_f32_f16_e32 v3, v7
	v_cvt_f32_f16_sdwa v4, v5 dst_sel:DWORD dst_unused:UNUSED_PAD src0_sel:WORD_1
	v_cvt_f32_f16_sdwa v5, v7 dst_sel:DWORD dst_unused:UNUSED_PAD src0_sel:WORD_1
	v_cvt_f32_f16_e32 v6, v8
	v_cvt_f32_f16_sdwa v8, v8 dst_sel:DWORD dst_unused:UNUSED_PAD src0_sel:WORD_1
	v_cvt_f32_f16_e32 v7, v9
	v_cvt_f32_f16_sdwa v9, v9 dst_sel:DWORD dst_unused:UNUSED_PAD src0_sel:WORD_1
	v_pk_add_f32 v[2:3], v[2:3], v[4:5]
	ds_bpermute_b32 v4, v24, v2
	ds_bpermute_b32 v5, v24, v3
	v_pk_add_f32 v[8:9], v[6:7], v[8:9]
	ds_bpermute_b32 v10, v24, v8
	ds_bpermute_b32 v11, v24, v9
	v_lshlrev_b32_e32 v6, 2, v25
	s_waitcnt lgkmcnt(2)
	v_pk_add_f32 v[2:3], v[2:3], v[4:5]
	ds_bpermute_b32 v4, v6, v2
	ds_bpermute_b32 v5, v6, v3
	s_waitcnt lgkmcnt(2)
	v_pk_add_f32 v[8:9], v[8:9], v[10:11]
	ds_bpermute_b32 v10, v6, v8
	ds_bpermute_b32 v11, v6, v9
	v_lshlrev_b32_e32 v7, 2, v26
	s_waitcnt lgkmcnt(2)
	v_pk_add_f32 v[2:3], v[2:3], v[4:5]
	ds_bpermute_b32 v4, v7, v2
	ds_bpermute_b32 v5, v7, v3
	s_waitcnt lgkmcnt(2)
	v_pk_add_f32 v[10:11], v[8:9], v[10:11]
	ds_bpermute_b32 v12, v7, v10
	ds_bpermute_b32 v13, v7, v11
	v_lshlrev_b32_e32 v8, 2, v27
	s_waitcnt lgkmcnt(2)
	v_pk_add_f32 v[2:3], v[2:3], v[4:5]
	ds_bpermute_b32 v4, v8, v2
	ds_bpermute_b32 v5, v8, v3
	s_waitcnt lgkmcnt(2)
	v_pk_add_f32 v[10:11], v[10:11], v[12:13]
	ds_bpermute_b32 v12, v8, v10
	ds_bpermute_b32 v13, v8, v11
	v_lshlrev_b32_e32 v9, 2, v28
	s_waitcnt lgkmcnt(2)
	v_pk_add_f32 v[2:3], v[2:3], v[4:5]
	ds_bpermute_b32 v4, v9, v2
	ds_bpermute_b32 v5, v9, v3
	s_waitcnt lgkmcnt(2)
	v_pk_add_f32 v[12:13], v[10:11], v[12:13]
	ds_bpermute_b32 v14, v9, v12
	ds_bpermute_b32 v15, v9, v13
	v_cndmask_b32_e32 v10, v22, v29, vcc
	v_lshlrev_b32_e32 v10, 2, v10
	s_waitcnt lgkmcnt(2)
	v_pk_add_f32 v[4:5], v[2:3], v[4:5]
	s_waitcnt lgkmcnt(0)
	v_pk_add_f32 v[2:3], v[12:13], v[14:15]
	ds_bpermute_b32 v12, v10, v4
	ds_bpermute_b32 v15, v10, v5
	;; [unrolled: 1-line block ×4, first 2 shown]
	v_and_b32_e32 v14, 63, v0
	v_cmp_gt_u32_e32 vcc, 4, v14
	s_and_saveexec_b64 s[6:7], vcc
	s_cbranch_execz .LBB1_2
; %bb.1:
	v_cmp_eq_u32_e32 vcc, 1, v14
	s_waitcnt lgkmcnt(2)
	v_cndmask_b32_e32 v12, v12, v15, vcc
	v_cmp_eq_u32_e64 s[0:1], 2, v14
	v_cndmask_b32_e32 v4, v4, v5, vcc
	v_lshrrev_b32_e32 v16, 4, v0
	s_waitcnt lgkmcnt(1)
	v_cndmask_b32_e64 v12, v12, v13, s[0:1]
	v_cmp_eq_u32_e64 s[2:3], 3, v14
	v_cndmask_b32_e64 v2, v4, v2, s[0:1]
	v_and_b32_e32 v16, 60, v16
	s_waitcnt lgkmcnt(0)
	v_cndmask_b32_e64 v11, v12, v11, s[2:3]
	v_cndmask_b32_e64 v2, v2, v3, s[2:3]
	v_lshl_or_b32 v16, v14, 8, v16
	v_add_f32_e32 v2, v2, v11
	ds_write_b32 v16, v2
.LBB1_2:
	s_or_b64 exec, exec, s[6:7]
	v_cmp_gt_u32_e32 vcc, 64, v0
	s_waitcnt lgkmcnt(0)
	s_barrier
	s_and_saveexec_b64 s[0:1], vcc
	s_cbranch_execz .LBB1_7
; %bb.3:
	s_lshr_b32 s0, s9, 6
	v_and_b32_e32 v3, 15, v0
	v_cmp_gt_u32_e32 vcc, s0, v3
	v_mov_b32_e32 v2, 0
	s_and_saveexec_b64 s[0:1], vcc
	s_cbranch_execz .LBB1_5
; %bb.4:
	v_lshlrev_b32_e32 v2, 2, v3
	s_movk_i32 s2, 0x3f00
	v_and_or_b32 v1, v1, s2, v2
	ds_read_b32 v2, v1
.LBB1_5:
	s_or_b64 exec, exec, s[0:1]
	s_waitcnt lgkmcnt(0)
	ds_bpermute_b32 v1, v7, v2
	v_and_b32_e32 v3, 31, v0
	v_cmp_eq_u32_e32 vcc, 0, v3
	s_waitcnt lgkmcnt(0)
	v_add_f32_e32 v1, v2, v1
	ds_bpermute_b32 v2, v8, v1
	s_waitcnt lgkmcnt(0)
	v_add_f32_e32 v1, v1, v2
	ds_bpermute_b32 v2, v9, v1
	;; [unrolled: 3-line block ×4, first 2 shown]
	s_and_b64 exec, exec, vcc
	s_cbranch_execz .LBB1_7
; %bb.6:
	v_mul_f32_e32 v3, 0xbfb8aa3b, v1
	s_mov_b32 s0, 0xbfb8aa3b
	v_rndne_f32_e32 v4, v3
	v_sub_f32_e32 v5, v3, v4
	v_fma_f32 v3, v1, s0, -v3
	v_fmac_f32_e32 v3, 0xb2a5705f, v1
	v_add_f32_e32 v3, v5, v3
	v_exp_f32_e32 v3, v3
	v_cvt_i32_f32_e32 v4, v4
	s_mov_b32 s0, 0x42ce8ed0
	v_cmp_nlt_f32_e32 vcc, s0, v1
	s_mov_b32 s0, 0xc2b17218
	v_ldexp_f32 v3, v3, v4
	v_cndmask_b32_e32 v3, 0, v3, vcc
	v_mov_b32_e32 v4, 0x7f800000
	v_cmp_ngt_f32_e32 vcc, s0, v1
	v_cndmask_b32_e32 v3, v4, v3, vcc
	v_add_f32_e32 v3, 1.0, v3
	v_div_scale_f32 v4, s[0:1], v3, v3, v1
	v_rcp_f32_e32 v5, v4
	s_load_dwordx2 s[0:1], s[4:5], 0x10
	v_lshrrev_b32_e32 v0, 5, v0
	v_or_b32_e32 v0, s8, v0
	v_fma_f32 v6, -v4, v5, 1.0
	v_fmac_f32_e32 v5, v6, v5
	v_div_scale_f32 v6, vcc, v1, v3, v1
	v_mul_f32_e32 v7, v6, v5
	v_fma_f32 v8, -v4, v7, v6
	v_fmac_f32_e32 v7, v8, v5
	v_fma_f32 v4, -v4, v7, v6
	v_div_fmas_f32 v4, v4, v5, v7
	v_div_fixup_f32 v1, v4, v3, v1
	s_waitcnt lgkmcnt(0)
	v_fma_mixlo_f16 v1, v1, v2, 0
	v_lshlrev_b32_e32 v0, 1, v0
	global_store_short v0, v1, s[0:1]
.LBB1_7:
	s_endpgm
	.section	.rodata,"a",@progbits
	.p2align	6, 0x0
	.amdhsa_kernel _Z18LLGemm_Silu_kernelILi4EEvP15HIP_vector_typeIfLj4EEP7__half2PDF16_i
		.amdhsa_group_segment_fixed_size 1024
		.amdhsa_private_segment_fixed_size 0
		.amdhsa_kernarg_size 288
		.amdhsa_user_sgpr_count 6
		.amdhsa_user_sgpr_private_segment_buffer 1
		.amdhsa_user_sgpr_dispatch_ptr 0
		.amdhsa_user_sgpr_queue_ptr 0
		.amdhsa_user_sgpr_kernarg_segment_ptr 1
		.amdhsa_user_sgpr_dispatch_id 0
		.amdhsa_user_sgpr_flat_scratch_init 0
		.amdhsa_user_sgpr_kernarg_preload_length 0
		.amdhsa_user_sgpr_kernarg_preload_offset 0
		.amdhsa_user_sgpr_private_segment_size 0
		.amdhsa_uses_dynamic_stack 0
		.amdhsa_system_sgpr_private_segment_wavefront_offset 0
		.amdhsa_system_sgpr_workgroup_id_x 1
		.amdhsa_system_sgpr_workgroup_id_y 0
		.amdhsa_system_sgpr_workgroup_id_z 0
		.amdhsa_system_sgpr_workgroup_info 0
		.amdhsa_system_vgpr_workitem_id 0
		.amdhsa_next_free_vgpr 30
		.amdhsa_next_free_sgpr 11
		.amdhsa_accum_offset 32
		.amdhsa_reserve_vcc 1
		.amdhsa_reserve_flat_scratch 0
		.amdhsa_float_round_mode_32 0
		.amdhsa_float_round_mode_16_64 0
		.amdhsa_float_denorm_mode_32 3
		.amdhsa_float_denorm_mode_16_64 3
		.amdhsa_dx10_clamp 1
		.amdhsa_ieee_mode 1
		.amdhsa_fp16_overflow 0
		.amdhsa_tg_split 0
		.amdhsa_exception_fp_ieee_invalid_op 0
		.amdhsa_exception_fp_denorm_src 0
		.amdhsa_exception_fp_ieee_div_zero 0
		.amdhsa_exception_fp_ieee_overflow 0
		.amdhsa_exception_fp_ieee_underflow 0
		.amdhsa_exception_fp_ieee_inexact 0
		.amdhsa_exception_int_div_zero 0
	.end_amdhsa_kernel
	.section	.text._Z18LLGemm_Silu_kernelILi4EEvP15HIP_vector_typeIfLj4EEP7__half2PDF16_i,"axG",@progbits,_Z18LLGemm_Silu_kernelILi4EEvP15HIP_vector_typeIfLj4EEP7__half2PDF16_i,comdat
.Lfunc_end1:
	.size	_Z18LLGemm_Silu_kernelILi4EEvP15HIP_vector_typeIfLj4EEP7__half2PDF16_i, .Lfunc_end1-_Z18LLGemm_Silu_kernelILi4EEvP15HIP_vector_typeIfLj4EEP7__half2PDF16_i
                                        ; -- End function
	.section	.AMDGPU.csdata,"",@progbits
; Kernel info:
; codeLenInByte = 1340
; NumSgprs: 15
; NumVgprs: 30
; NumAgprs: 0
; TotalNumVgprs: 30
; ScratchSize: 0
; MemoryBound: 0
; FloatMode: 240
; IeeeMode: 1
; LDSByteSize: 1024 bytes/workgroup (compile time only)
; SGPRBlocks: 1
; VGPRBlocks: 3
; NumSGPRsForWavesPerEU: 15
; NumVGPRsForWavesPerEU: 30
; AccumOffset: 32
; Occupancy: 8
; WaveLimiterHint : 0
; COMPUTE_PGM_RSRC2:SCRATCH_EN: 0
; COMPUTE_PGM_RSRC2:USER_SGPR: 6
; COMPUTE_PGM_RSRC2:TRAP_HANDLER: 0
; COMPUTE_PGM_RSRC2:TGID_X_EN: 1
; COMPUTE_PGM_RSRC2:TGID_Y_EN: 0
; COMPUTE_PGM_RSRC2:TGID_Z_EN: 0
; COMPUTE_PGM_RSRC2:TIDIG_COMP_CNT: 0
; COMPUTE_PGM_RSRC3_GFX90A:ACCUM_OFFSET: 7
; COMPUTE_PGM_RSRC3_GFX90A:TG_SPLIT: 0
	.section	.text._Z18LLGemm_Silu_kernelILi8EEvP15HIP_vector_typeIfLj4EEP7__half2PDF16_i,"axG",@progbits,_Z18LLGemm_Silu_kernelILi8EEvP15HIP_vector_typeIfLj4EEP7__half2PDF16_i,comdat
	.protected	_Z18LLGemm_Silu_kernelILi8EEvP15HIP_vector_typeIfLj4EEP7__half2PDF16_i ; -- Begin function _Z18LLGemm_Silu_kernelILi8EEvP15HIP_vector_typeIfLj4EEP7__half2PDF16_i
	.globl	_Z18LLGemm_Silu_kernelILi8EEvP15HIP_vector_typeIfLj4EEP7__half2PDF16_i
	.p2align	8
	.type	_Z18LLGemm_Silu_kernelILi8EEvP15HIP_vector_typeIfLj4EEP7__half2PDF16_i,@function
_Z18LLGemm_Silu_kernelILi8EEvP15HIP_vector_typeIfLj4EEP7__half2PDF16_i: ; @_Z18LLGemm_Silu_kernelILi8EEvP15HIP_vector_typeIfLj4EEP7__half2PDF16_i
; %bb.0:
	s_load_dword s7, s[4:5], 0x2c
	s_load_dword s8, s[4:5], 0x18
	s_load_dwordx4 s[0:3], s[4:5], 0x0
	s_lshl_b32 s6, s6, 2
	s_and_b32 s6, s6, 0x7ffffffc
	s_waitcnt lgkmcnt(0)
	s_and_b32 s7, s7, 0xffff
	s_mul_i32 s9, s6, s7
	s_add_i32 s8, s6, s8
	v_add_u32_e32 v34, s9, v0
	v_mov_b32_e32 v35, 0
	v_lshlrev_b64 v[2:3], 4, v[34:35]
	s_mul_i32 s8, s8, s7
	v_mov_b32_e32 v1, s1
	v_add_co_u32_e32 v10, vcc, s0, v2
	v_add_u32_e32 v12, s8, v0
	v_mov_b32_e32 v13, v35
	v_addc_co_u32_e32 v11, vcc, v1, v3, vcc
	v_lshlrev_b64 v[2:3], 4, v[12:13]
	v_add_co_u32_e32 v14, vcc, s0, v2
	v_add_u32_e32 v34, s7, v34
	v_addc_co_u32_e32 v15, vcc, v1, v3, vcc
	global_load_dwordx4 v[2:5], v[10:11], off glc slc
	global_load_dwordx4 v[6:9], v[14:15], off glc slc
	v_lshlrev_b64 v[10:11], 4, v[34:35]
	v_add_co_u32_e32 v18, vcc, s0, v10
	v_add_u32_e32 v22, s7, v12
	v_mov_b32_e32 v23, v35
	v_addc_co_u32_e32 v19, vcc, v1, v11, vcc
	v_lshlrev_b64 v[10:11], 4, v[22:23]
	v_add_co_u32_e32 v20, vcc, s0, v10
	v_addc_co_u32_e32 v21, vcc, v1, v11, vcc
	v_lshlrev_b32_e32 v1, 4, v0
	global_load_dwordx4 v[10:13], v[18:19], off glc slc
	global_load_dwordx4 v[14:17], v[20:21], off glc slc
	v_add_u32_e32 v34, s7, v34
	global_load_dwordx4 v[18:21], v1, s[2:3]
	v_lshlrev_b64 v[24:25], 4, v[34:35]
	v_mov_b32_e32 v23, s1
	v_add_co_u32_e32 v30, vcc, s0, v24
	v_add_u32_e32 v36, s7, v22
	v_mov_b32_e32 v37, v35
	v_addc_co_u32_e32 v31, vcc, v23, v25, vcc
	v_lshlrev_b64 v[22:23], 4, v[36:37]
	v_mov_b32_e32 v24, s1
	v_add_co_u32_e32 v32, vcc, s0, v22
	v_addc_co_u32_e32 v33, vcc, v24, v23, vcc
	global_load_dwordx4 v[22:25], v[30:31], off glc slc
	global_load_dwordx4 v[26:29], v[32:33], off glc slc
	v_add_u32_e32 v34, s7, v34
	v_lshlrev_b64 v[30:31], 4, v[34:35]
	v_mov_b32_e32 v32, s1
	v_add_co_u32_e32 v30, vcc, s0, v30
	v_addc_co_u32_e32 v31, vcc, v32, v31, vcc
	v_add_u32_e32 v34, s7, v36
	global_load_dwordx4 v[30:33], v[30:31], off glc slc
	v_lshlrev_b64 v[34:35], 4, v[34:35]
	v_mov_b32_e32 v36, s1
	v_add_co_u32_e32 v34, vcc, s0, v34
	v_addc_co_u32_e32 v35, vcc, v36, v35, vcc
	global_load_dwordx4 v[34:37], v[34:35], off glc slc
	s_waitcnt vmcnt(4)
	v_pk_mul_f16 v2, v18, v2
	v_pk_mul_f16 v6, v18, v6
	v_pk_fma_f16 v2, v3, v19, v2
	v_pk_fma_f16 v3, v7, v19, v6
	v_pk_mul_f16 v6, v18, v10
	v_pk_mul_f16 v7, v18, v14
	v_pk_fma_f16 v2, v4, v20, v2
	v_pk_fma_f16 v4, v11, v19, v6
	;; [unrolled: 1-line block ×10, first 2 shown]
	s_waitcnt vmcnt(3)
	v_pk_mul_f16 v2, v18, v22
	v_pk_fma_f16 v2, v23, v19, v2
	v_pk_fma_f16 v2, v24, v20, v2
	v_pk_fma_f16 v12, v25, v21, v2
	s_waitcnt vmcnt(2)
	v_pk_mul_f16 v2, v18, v26
	v_pk_fma_f16 v2, v27, v19, v2
	v_pk_fma_f16 v2, v28, v20, v2
	v_pk_fma_f16 v13, v29, v21, v2
	;; [unrolled: 5-line block ×3, first 2 shown]
	v_cvt_f32_f16_e32 v3, v7
	v_cvt_f32_f16_sdwa v4, v5 dst_sel:DWORD dst_unused:UNUSED_PAD src0_sel:WORD_1
	v_cvt_f32_f16_e32 v11, v13
	s_waitcnt vmcnt(0)
	v_pk_mul_f16 v2, v18, v34
	v_pk_fma_f16 v2, v35, v19, v2
	v_pk_fma_f16 v2, v36, v20, v2
	;; [unrolled: 1-line block ×3, first 2 shown]
	v_mbcnt_lo_u32_b32 v2, -1, 0
	v_mbcnt_hi_u32_b32 v24, -1, v2
	v_and_b32_e32 v2, 64, v24
	v_add_u32_e32 v25, 64, v2
	v_xor_b32_e32 v2, 32, v24
	v_cmp_lt_i32_e32 vcc, v2, v25
	v_cndmask_b32_e32 v2, v24, v2, vcc
	v_lshlrev_b32_e32 v22, 2, v2
	v_xor_b32_e32 v2, 16, v24
	v_cmp_lt_i32_e32 vcc, v2, v25
	v_cndmask_b32_e32 v2, v24, v2, vcc
	v_lshlrev_b32_e32 v18, 2, v2
	v_xor_b32_e32 v2, 8, v24
	v_cmp_lt_i32_e32 vcc, v2, v25
	v_xor_b32_e32 v6, 4, v24
	v_cndmask_b32_e32 v2, v24, v2, vcc
	v_cmp_lt_i32_e32 vcc, v6, v25
	v_cndmask_b32_e32 v6, v24, v6, vcc
	v_lshlrev_b32_e32 v19, 2, v2
	v_cvt_f32_f16_e32 v2, v5
	v_cvt_f32_f16_sdwa v5, v7 dst_sel:DWORD dst_unused:UNUSED_PAD src0_sel:WORD_1
	v_lshlrev_b32_e32 v20, 2, v6
	v_cvt_f32_f16_e32 v6, v8
	v_cvt_f32_f16_e32 v7, v9
	v_cvt_f32_f16_sdwa v8, v8 dst_sel:DWORD dst_unused:UNUSED_PAD src0_sel:WORD_1
	v_cvt_f32_f16_sdwa v9, v9 dst_sel:DWORD dst_unused:UNUSED_PAD src0_sel:WORD_1
	v_xor_b32_e32 v10, 2, v24
	v_cmp_lt_i32_e32 vcc, v10, v25
	v_cndmask_b32_e32 v10, v24, v10, vcc
	v_pk_add_f32 v[6:7], v[6:7], v[8:9]
	ds_bpermute_b32 v8, v22, v6
	ds_bpermute_b32 v9, v22, v7
	v_lshlrev_b32_e32 v21, 2, v10
	v_cvt_f32_f16_e32 v10, v12
	v_cvt_f32_f16_sdwa v12, v12 dst_sel:DWORD dst_unused:UNUSED_PAD src0_sel:WORD_1
	v_cvt_f32_f16_sdwa v13, v13 dst_sel:DWORD dst_unused:UNUSED_PAD src0_sel:WORD_1
	s_waitcnt lgkmcnt(0)
	v_pk_add_f32 v[6:7], v[6:7], v[8:9]
	ds_bpermute_b32 v8, v18, v6
	ds_bpermute_b32 v9, v18, v7
	v_cvt_f32_f16_e32 v14, v16
	v_cvt_f32_f16_e32 v15, v17
	v_cvt_f32_f16_sdwa v16, v16 dst_sel:DWORD dst_unused:UNUSED_PAD src0_sel:WORD_1
	v_cvt_f32_f16_sdwa v17, v17 dst_sel:DWORD dst_unused:UNUSED_PAD src0_sel:WORD_1
	v_pk_add_f32 v[2:3], v[2:3], v[4:5]
	s_waitcnt lgkmcnt(0)
	v_pk_add_f32 v[6:7], v[6:7], v[8:9]
	v_pk_add_f32 v[10:11], v[10:11], v[12:13]
	ds_bpermute_b32 v4, v22, v2
	ds_bpermute_b32 v5, v22, v3
	;; [unrolled: 1-line block ×6, first 2 shown]
	v_pk_add_f32 v[14:15], v[14:15], v[16:17]
	ds_bpermute_b32 v16, v22, v14
	ds_bpermute_b32 v17, v22, v15
	s_waitcnt lgkmcnt(6)
	v_pk_add_f32 v[2:3], v[2:3], v[4:5]
	s_waitcnt lgkmcnt(4)
	v_pk_add_f32 v[6:7], v[6:7], v[8:9]
	;; [unrolled: 2-line block ×3, first 2 shown]
	ds_bpermute_b32 v4, v18, v2
	ds_bpermute_b32 v5, v18, v3
	;; [unrolled: 1-line block ×6, first 2 shown]
	s_waitcnt lgkmcnt(6)
	v_pk_add_f32 v[14:15], v[14:15], v[16:17]
	ds_bpermute_b32 v16, v18, v14
	ds_bpermute_b32 v17, v18, v15
	s_waitcnt lgkmcnt(6)
	v_pk_add_f32 v[2:3], v[2:3], v[4:5]
	s_waitcnt lgkmcnt(4)
	v_pk_add_f32 v[6:7], v[6:7], v[8:9]
	;; [unrolled: 2-line block ×3, first 2 shown]
	ds_bpermute_b32 v4, v19, v2
	ds_bpermute_b32 v5, v19, v3
	;; [unrolled: 1-line block ×4, first 2 shown]
	s_waitcnt lgkmcnt(4)
	v_pk_add_f32 v[12:13], v[14:15], v[16:17]
	ds_bpermute_b32 v14, v19, v12
	ds_bpermute_b32 v15, v19, v13
	s_waitcnt lgkmcnt(4)
	v_pk_add_f32 v[2:3], v[2:3], v[4:5]
	s_waitcnt lgkmcnt(2)
	v_pk_add_f32 v[8:9], v[8:9], v[10:11]
	ds_bpermute_b32 v4, v20, v2
	ds_bpermute_b32 v5, v20, v3
	;; [unrolled: 1-line block ×4, first 2 shown]
	s_waitcnt lgkmcnt(4)
	v_pk_add_f32 v[12:13], v[12:13], v[14:15]
	ds_bpermute_b32 v14, v20, v12
	ds_bpermute_b32 v15, v20, v13
	s_waitcnt lgkmcnt(4)
	v_pk_add_f32 v[2:3], v[2:3], v[4:5]
	s_waitcnt lgkmcnt(2)
	v_pk_add_f32 v[10:11], v[8:9], v[10:11]
	ds_bpermute_b32 v4, v21, v2
	ds_bpermute_b32 v5, v21, v3
	;; [unrolled: 1-line block ×4, first 2 shown]
	s_waitcnt lgkmcnt(4)
	v_pk_add_f32 v[12:13], v[12:13], v[14:15]
	ds_bpermute_b32 v16, v21, v6
	ds_bpermute_b32 v17, v21, v7
	;; [unrolled: 1-line block ×4, first 2 shown]
	s_waitcnt lgkmcnt(6)
	v_pk_add_f32 v[8:9], v[2:3], v[4:5]
	s_waitcnt lgkmcnt(4)
	v_pk_add_f32 v[2:3], v[10:11], v[22:23]
	v_xor_b32_e32 v10, 1, v24
	v_cmp_lt_i32_e32 vcc, v10, v25
	v_cndmask_b32_e32 v10, v24, v10, vcc
	s_waitcnt lgkmcnt(2)
	v_pk_add_f32 v[4:5], v[6:7], v[16:17]
	s_waitcnt lgkmcnt(0)
	v_pk_add_f32 v[6:7], v[12:13], v[14:15]
	v_lshlrev_b32_e32 v22, 2, v10
	ds_bpermute_b32 v16, v22, v8
	ds_bpermute_b32 v17, v22, v9
	ds_bpermute_b32 v12, v22, v4
	ds_bpermute_b32 v13, v22, v5
	ds_bpermute_b32 v10, v22, v2
	ds_bpermute_b32 v11, v22, v3
	ds_bpermute_b32 v14, v22, v6
	ds_bpermute_b32 v15, v22, v7
	v_and_b32_e32 v23, 63, v0
	v_cmp_gt_u32_e32 vcc, 8, v23
	s_and_saveexec_b64 s[0:1], vcc
	s_cbranch_execz .LBB2_2
; %bb.1:
	s_waitcnt lgkmcnt(6)
	v_pk_add_f32 v[8:9], v[8:9], v[16:17]
	v_cmp_eq_u32_e32 vcc, 1, v23
	s_waitcnt lgkmcnt(4)
	v_pk_add_f32 v[4:5], v[4:5], v[12:13]
	v_cndmask_b32_e32 v8, v8, v9, vcc
	v_cmp_eq_u32_e32 vcc, 2, v23
	v_cndmask_b32_e32 v4, v8, v4, vcc
	v_cmp_eq_u32_e32 vcc, 3, v23
	s_waitcnt lgkmcnt(2)
	v_pk_add_f32 v[2:3], v[2:3], v[10:11]
	v_cndmask_b32_e32 v4, v4, v5, vcc
	v_cmp_eq_u32_e32 vcc, 4, v23
	v_cndmask_b32_e32 v2, v4, v2, vcc
	v_cmp_eq_u32_e32 vcc, 5, v23
	s_waitcnt lgkmcnt(0)
	v_pk_add_f32 v[6:7], v[6:7], v[14:15]
	v_lshrrev_b32_e32 v10, 4, v0
	v_cndmask_b32_e32 v2, v2, v3, vcc
	v_cmp_eq_u32_e32 vcc, 6, v23
	v_and_b32_e32 v10, 60, v10
	v_cndmask_b32_e32 v2, v2, v6, vcc
	v_cmp_eq_u32_e32 vcc, 7, v23
	v_lshl_or_b32 v10, v23, 8, v10
	v_cndmask_b32_e32 v2, v2, v7, vcc
	ds_write_b32 v10, v2
.LBB2_2:
	s_or_b64 exec, exec, s[0:1]
	s_movk_i32 s0, 0x80
	v_cmp_gt_u32_e32 vcc, s0, v0
	s_waitcnt lgkmcnt(0)
	s_barrier
	s_and_saveexec_b64 s[0:1], vcc
	s_cbranch_execz .LBB2_7
; %bb.3:
	s_lshr_b32 s0, s7, 6
	v_and_b32_e32 v3, 15, v0
	v_cmp_gt_u32_e32 vcc, s0, v3
	v_mov_b32_e32 v2, 0
	s_and_saveexec_b64 s[0:1], vcc
	s_cbranch_execz .LBB2_5
; %bb.4:
	v_lshlrev_b32_e32 v2, 2, v3
	s_movk_i32 s2, 0x3f00
	v_and_or_b32 v1, v1, s2, v2
	ds_read_b32 v2, v1
.LBB2_5:
	s_or_b64 exec, exec, s[0:1]
	s_waitcnt lgkmcnt(0)
	ds_bpermute_b32 v1, v19, v2
	v_and_b32_e32 v3, 31, v0
	v_cmp_eq_u32_e32 vcc, 0, v3
	s_waitcnt lgkmcnt(0)
	v_add_f32_e32 v1, v2, v1
	ds_bpermute_b32 v2, v20, v1
	s_waitcnt lgkmcnt(0)
	v_add_f32_e32 v1, v1, v2
	ds_bpermute_b32 v2, v21, v1
	;; [unrolled: 3-line block ×4, first 2 shown]
	s_and_b64 exec, exec, vcc
	s_cbranch_execz .LBB2_7
; %bb.6:
	v_mul_f32_e32 v3, 0xbfb8aa3b, v1
	s_mov_b32 s0, 0xbfb8aa3b
	v_rndne_f32_e32 v4, v3
	v_sub_f32_e32 v5, v3, v4
	v_fma_f32 v3, v1, s0, -v3
	v_fmac_f32_e32 v3, 0xb2a5705f, v1
	v_add_f32_e32 v3, v5, v3
	v_exp_f32_e32 v3, v3
	v_cvt_i32_f32_e32 v4, v4
	s_mov_b32 s0, 0x42ce8ed0
	v_cmp_nlt_f32_e32 vcc, s0, v1
	s_mov_b32 s0, 0xc2b17218
	v_ldexp_f32 v3, v3, v4
	v_cndmask_b32_e32 v3, 0, v3, vcc
	v_mov_b32_e32 v4, 0x7f800000
	v_cmp_ngt_f32_e32 vcc, s0, v1
	v_cndmask_b32_e32 v3, v4, v3, vcc
	v_add_f32_e32 v3, 1.0, v3
	v_div_scale_f32 v4, s[0:1], v3, v3, v1
	v_rcp_f32_e32 v5, v4
	s_load_dwordx2 s[0:1], s[4:5], 0x10
	v_lshrrev_b32_e32 v0, 5, v0
	v_or_b32_e32 v0, s6, v0
	v_fma_f32 v6, -v4, v5, 1.0
	v_fmac_f32_e32 v5, v6, v5
	v_div_scale_f32 v6, vcc, v1, v3, v1
	v_mul_f32_e32 v7, v6, v5
	v_fma_f32 v8, -v4, v7, v6
	v_fmac_f32_e32 v7, v8, v5
	v_fma_f32 v4, -v4, v7, v6
	v_div_fmas_f32 v4, v4, v5, v7
	v_div_fixup_f32 v1, v4, v3, v1
	s_waitcnt lgkmcnt(0)
	v_fma_mixlo_f16 v1, v1, v2, 0
	v_lshlrev_b32_e32 v0, 1, v0
	global_store_short v0, v1, s[0:1]
.LBB2_7:
	s_endpgm
	.section	.rodata,"a",@progbits
	.p2align	6, 0x0
	.amdhsa_kernel _Z18LLGemm_Silu_kernelILi8EEvP15HIP_vector_typeIfLj4EEP7__half2PDF16_i
		.amdhsa_group_segment_fixed_size 2048
		.amdhsa_private_segment_fixed_size 0
		.amdhsa_kernarg_size 288
		.amdhsa_user_sgpr_count 6
		.amdhsa_user_sgpr_private_segment_buffer 1
		.amdhsa_user_sgpr_dispatch_ptr 0
		.amdhsa_user_sgpr_queue_ptr 0
		.amdhsa_user_sgpr_kernarg_segment_ptr 1
		.amdhsa_user_sgpr_dispatch_id 0
		.amdhsa_user_sgpr_flat_scratch_init 0
		.amdhsa_user_sgpr_kernarg_preload_length 0
		.amdhsa_user_sgpr_kernarg_preload_offset 0
		.amdhsa_user_sgpr_private_segment_size 0
		.amdhsa_uses_dynamic_stack 0
		.amdhsa_system_sgpr_private_segment_wavefront_offset 0
		.amdhsa_system_sgpr_workgroup_id_x 1
		.amdhsa_system_sgpr_workgroup_id_y 0
		.amdhsa_system_sgpr_workgroup_id_z 0
		.amdhsa_system_sgpr_workgroup_info 0
		.amdhsa_system_vgpr_workitem_id 0
		.amdhsa_next_free_vgpr 38
		.amdhsa_next_free_sgpr 10
		.amdhsa_accum_offset 40
		.amdhsa_reserve_vcc 1
		.amdhsa_reserve_flat_scratch 0
		.amdhsa_float_round_mode_32 0
		.amdhsa_float_round_mode_16_64 0
		.amdhsa_float_denorm_mode_32 3
		.amdhsa_float_denorm_mode_16_64 3
		.amdhsa_dx10_clamp 1
		.amdhsa_ieee_mode 1
		.amdhsa_fp16_overflow 0
		.amdhsa_tg_split 0
		.amdhsa_exception_fp_ieee_invalid_op 0
		.amdhsa_exception_fp_denorm_src 0
		.amdhsa_exception_fp_ieee_div_zero 0
		.amdhsa_exception_fp_ieee_overflow 0
		.amdhsa_exception_fp_ieee_underflow 0
		.amdhsa_exception_fp_ieee_inexact 0
		.amdhsa_exception_int_div_zero 0
	.end_amdhsa_kernel
	.section	.text._Z18LLGemm_Silu_kernelILi8EEvP15HIP_vector_typeIfLj4EEP7__half2PDF16_i,"axG",@progbits,_Z18LLGemm_Silu_kernelILi8EEvP15HIP_vector_typeIfLj4EEP7__half2PDF16_i,comdat
.Lfunc_end2:
	.size	_Z18LLGemm_Silu_kernelILi8EEvP15HIP_vector_typeIfLj4EEP7__half2PDF16_i, .Lfunc_end2-_Z18LLGemm_Silu_kernelILi8EEvP15HIP_vector_typeIfLj4EEP7__half2PDF16_i
                                        ; -- End function
	.section	.AMDGPU.csdata,"",@progbits
; Kernel info:
; codeLenInByte = 2016
; NumSgprs: 14
; NumVgprs: 38
; NumAgprs: 0
; TotalNumVgprs: 38
; ScratchSize: 0
; MemoryBound: 0
; FloatMode: 240
; IeeeMode: 1
; LDSByteSize: 2048 bytes/workgroup (compile time only)
; SGPRBlocks: 1
; VGPRBlocks: 4
; NumSGPRsForWavesPerEU: 14
; NumVGPRsForWavesPerEU: 38
; AccumOffset: 40
; Occupancy: 8
; WaveLimiterHint : 0
; COMPUTE_PGM_RSRC2:SCRATCH_EN: 0
; COMPUTE_PGM_RSRC2:USER_SGPR: 6
; COMPUTE_PGM_RSRC2:TRAP_HANDLER: 0
; COMPUTE_PGM_RSRC2:TGID_X_EN: 1
; COMPUTE_PGM_RSRC2:TGID_Y_EN: 0
; COMPUTE_PGM_RSRC2:TGID_Z_EN: 0
; COMPUTE_PGM_RSRC2:TIDIG_COMP_CNT: 0
; COMPUTE_PGM_RSRC3_GFX90A:ACCUM_OFFSET: 9
; COMPUTE_PGM_RSRC3_GFX90A:TG_SPLIT: 0
	.section	.text._Z18LLGemm_Silu_kernelILi16EEvP15HIP_vector_typeIfLj4EEP7__half2PDF16_i,"axG",@progbits,_Z18LLGemm_Silu_kernelILi16EEvP15HIP_vector_typeIfLj4EEP7__half2PDF16_i,comdat
	.protected	_Z18LLGemm_Silu_kernelILi16EEvP15HIP_vector_typeIfLj4EEP7__half2PDF16_i ; -- Begin function _Z18LLGemm_Silu_kernelILi16EEvP15HIP_vector_typeIfLj4EEP7__half2PDF16_i
	.globl	_Z18LLGemm_Silu_kernelILi16EEvP15HIP_vector_typeIfLj4EEP7__half2PDF16_i
	.p2align	8
	.type	_Z18LLGemm_Silu_kernelILi16EEvP15HIP_vector_typeIfLj4EEP7__half2PDF16_i,@function
_Z18LLGemm_Silu_kernelILi16EEvP15HIP_vector_typeIfLj4EEP7__half2PDF16_i: ; @_Z18LLGemm_Silu_kernelILi16EEvP15HIP_vector_typeIfLj4EEP7__half2PDF16_i
; %bb.0:
	s_load_dword s7, s[4:5], 0x2c
	s_load_dword s8, s[4:5], 0x18
	s_load_dwordx4 s[0:3], s[4:5], 0x0
	s_lshl_b32 s6, s6, 3
	s_and_b32 s6, s6, 0x7ffffff8
	s_waitcnt lgkmcnt(0)
	s_and_b32 s7, s7, 0xffff
	s_mul_i32 s9, s6, s7
	s_add_i32 s8, s6, s8
	v_add_u32_e32 v22, s9, v0
	v_mov_b32_e32 v23, 0
	v_lshlrev_b64 v[2:3], 4, v[22:23]
	s_mul_i32 s8, s8, s7
	v_mov_b32_e32 v1, s1
	v_add_co_u32_e32 v2, vcc, s0, v2
	v_add_u32_e32 v4, s8, v0
	v_mov_b32_e32 v5, v23
	v_addc_co_u32_e32 v3, vcc, v1, v3, vcc
	v_lshlrev_b64 v[6:7], 4, v[4:5]
	v_add_co_u32_e32 v10, vcc, s0, v6
	v_add_u32_e32 v22, s7, v22
	v_addc_co_u32_e32 v11, vcc, v1, v7, vcc
	global_load_dwordx4 v[14:17], v[2:3], off glc slc
	global_load_dwordx4 v[6:9], v[10:11], off glc slc
	v_lshlrev_b64 v[2:3], 4, v[22:23]
	v_add_co_u32_e32 v2, vcc, s0, v2
	v_add_u32_e32 v24, s7, v4
	v_mov_b32_e32 v25, v23
	v_addc_co_u32_e32 v3, vcc, v1, v3, vcc
	v_lshlrev_b64 v[4:5], 4, v[24:25]
	v_add_co_u32_e32 v4, vcc, s0, v4
	v_addc_co_u32_e32 v5, vcc, v1, v5, vcc
	v_lshlrev_b32_e32 v1, 4, v0
	global_load_dwordx4 v[18:21], v[2:3], off glc slc
	global_load_dwordx4 v[10:13], v[4:5], off glc slc
	v_add_u32_e32 v22, s7, v22
	global_load_dwordx4 v[2:5], v1, s[2:3]
	v_lshlrev_b64 v[26:27], 4, v[22:23]
	v_mov_b32_e32 v25, s1
	v_add_co_u32_e32 v32, vcc, s0, v26
	v_add_u32_e32 v34, s7, v24
	v_mov_b32_e32 v35, v23
	v_addc_co_u32_e32 v33, vcc, v25, v27, vcc
	v_lshlrev_b64 v[24:25], 4, v[34:35]
	v_mov_b32_e32 v26, s1
	v_add_co_u32_e32 v36, vcc, s0, v24
	v_add_u32_e32 v22, s7, v22
	v_addc_co_u32_e32 v37, vcc, v26, v25, vcc
	global_load_dwordx4 v[24:27], v[32:33], off glc slc
	global_load_dwordx4 v[28:31], v[36:37], off glc slc
	v_lshlrev_b64 v[32:33], 4, v[22:23]
	v_mov_b32_e32 v35, s1
	v_add_co_u32_e32 v40, vcc, s0, v32
	v_add_u32_e32 v42, s7, v34
	v_mov_b32_e32 v43, v23
	v_addc_co_u32_e32 v41, vcc, v35, v33, vcc
	v_lshlrev_b64 v[32:33], 4, v[42:43]
	v_mov_b32_e32 v34, s1
	v_add_co_u32_e32 v44, vcc, s0, v32
	v_add_u32_e32 v22, s7, v22
	v_addc_co_u32_e32 v45, vcc, v34, v33, vcc
	global_load_dwordx4 v[32:35], v[40:41], off glc slc
	global_load_dwordx4 v[36:39], v[44:45], off glc slc
	v_lshlrev_b64 v[40:41], 4, v[22:23]
	v_mov_b32_e32 v43, s1
	v_add_co_u32_e32 v48, vcc, s0, v40
	v_addc_co_u32_e32 v49, vcc, v43, v41, vcc
	v_add_u32_e32 v40, s7, v42
	v_mov_b32_e32 v41, v23
	v_lshlrev_b64 v[42:43], 4, v[40:41]
	v_mov_b32_e32 v41, s1
	v_add_co_u32_e32 v50, vcc, s0, v42
	v_add_u32_e32 v22, s7, v22
	v_addc_co_u32_e32 v51, vcc, v41, v43, vcc
	v_lshlrev_b64 v[42:43], 4, v[22:23]
	v_add_co_u32_e32 v52, vcc, s0, v42
	v_addc_co_u32_e32 v53, vcc, v41, v43, vcc
	v_add_u32_e32 v40, s7, v40
	v_mov_b32_e32 v41, v23
	v_lshlrev_b64 v[42:43], 4, v[40:41]
	v_mov_b32_e32 v41, s1
	v_add_co_u32_e32 v54, vcc, s0, v42
	v_add_u32_e32 v22, s7, v22
	v_addc_co_u32_e32 v55, vcc, v41, v43, vcc
	v_lshlrev_b64 v[42:43], 4, v[22:23]
	v_add_co_u32_e32 v56, vcc, s0, v42
	v_add_u32_e32 v58, s7, v40
	v_mov_b32_e32 v59, v23
	v_addc_co_u32_e32 v57, vcc, v41, v43, vcc
	v_lshlrev_b64 v[40:41], 4, v[58:59]
	v_mov_b32_e32 v42, s1
	v_add_co_u32_e32 v60, vcc, s0, v40
	v_addc_co_u32_e32 v61, vcc, v42, v41, vcc
	global_load_dwordx4 v[40:43], v[48:49], off glc slc
	global_load_dwordx4 v[44:47], v[50:51], off glc slc
	v_add_u32_e32 v22, s7, v22
	s_waitcnt vmcnt(6)
	v_pk_mul_f16 v14, v2, v14
	v_pk_fma_f16 v14, v15, v3, v14
	v_pk_fma_f16 v14, v16, v4, v14
	;; [unrolled: 1-line block ×3, first 2 shown]
	v_lshlrev_b64 v[14:15], 4, v[22:23]
	v_mov_b32_e32 v16, s1
	v_add_co_u32_e32 v62, vcc, s0, v14
	v_addc_co_u32_e32 v63, vcc, v16, v15, vcc
	v_pk_mul_f16 v6, v2, v6
	global_load_dwordx4 v[14:17], v[52:53], off glc slc
	global_load_dwordx4 v[48:51], v[54:55], off glc slc
	v_pk_fma_f16 v6, v7, v3, v6
	v_pk_fma_f16 v6, v8, v4, v6
	;; [unrolled: 1-line block ×3, first 2 shown]
	v_pk_mul_f16 v6, v2, v18
	v_pk_fma_f16 v6, v19, v3, v6
	v_pk_fma_f16 v6, v20, v4, v6
	v_add_u32_e32 v22, s7, v58
	v_pk_fma_f16 v66, v21, v5, v6
	global_load_dwordx4 v[18:21], v[56:57], off glc slc
	global_load_dwordx4 v[52:55], v[60:61], off glc slc
	v_lshlrev_b64 v[6:7], 4, v[22:23]
	v_mov_b32_e32 v8, s1
	v_add_co_u32_e32 v6, vcc, s0, v6
	v_addc_co_u32_e32 v7, vcc, v8, v7, vcc
	v_pk_mul_f16 v8, v2, v10
	v_pk_fma_f16 v8, v11, v3, v8
	v_pk_fma_f16 v8, v12, v4, v8
	global_load_dwordx4 v[56:59], v[62:63], off glc slc
	v_pk_fma_f16 v22, v13, v5, v8
	global_load_dwordx4 v[6:9], v[6:7], off glc slc
	s_waitcnt vmcnt(11)
	v_pk_mul_f16 v10, v2, v24
	v_pk_fma_f16 v10, v25, v3, v10
	v_pk_fma_f16 v10, v26, v4, v10
	v_pk_fma_f16 v23, v27, v5, v10
	s_waitcnt vmcnt(10)
	v_pk_mul_f16 v10, v2, v28
	v_pk_fma_f16 v10, v29, v3, v10
	v_pk_fma_f16 v10, v30, v4, v10
	v_pk_fma_f16 v24, v31, v5, v10
	;; [unrolled: 5-line block ×4, first 2 shown]
	v_cvt_f32_f16_sdwa v26, v25 dst_sel:DWORD dst_unused:UNUSED_PAD src0_sel:WORD_1
	v_and_b32_e32 v39, 63, v0
	s_waitcnt vmcnt(7)
	v_pk_mul_f16 v10, v2, v40
	v_pk_fma_f16 v10, v41, v3, v10
	v_pk_fma_f16 v10, v42, v4, v10
	v_pk_fma_f16 v30, v43, v5, v10
	s_waitcnt vmcnt(6)
	v_pk_mul_f16 v10, v2, v44
	v_pk_fma_f16 v10, v45, v3, v10
	v_pk_fma_f16 v10, v46, v4, v10
	v_pk_fma_f16 v31, v47, v5, v10
	;; [unrolled: 5-line block ×4, first 2 shown]
	v_cvt_f32_f16_e32 v15, v22
	s_waitcnt vmcnt(3)
	v_pk_mul_f16 v10, v2, v18
	v_pk_fma_f16 v10, v19, v3, v10
	v_pk_fma_f16 v10, v20, v4, v10
	;; [unrolled: 1-line block ×3, first 2 shown]
	s_waitcnt vmcnt(2)
	v_pk_mul_f16 v10, v2, v52
	v_pk_fma_f16 v10, v53, v3, v10
	v_pk_fma_f16 v10, v54, v4, v10
	;; [unrolled: 1-line block ×3, first 2 shown]
	v_cvt_f32_f16_sdwa v16, v66 dst_sel:DWORD dst_unused:UNUSED_PAD src0_sel:WORD_1
	v_cvt_f32_f16_sdwa v17, v22 dst_sel:DWORD dst_unused:UNUSED_PAD src0_sel:WORD_1
	v_cvt_f32_f16_e32 v21, v24
	s_waitcnt vmcnt(1)
	v_pk_mul_f16 v10, v2, v56
	v_pk_fma_f16 v10, v57, v3, v10
	s_waitcnt vmcnt(0)
	v_pk_mul_f16 v2, v2, v6
	v_pk_fma_f16 v2, v7, v3, v2
	v_pk_fma_f16 v10, v58, v4, v10
	;; [unrolled: 1-line block ×3, first 2 shown]
	v_mbcnt_lo_u32_b32 v2, -1, 0
	v_mbcnt_hi_u32_b32 v18, -1, v2
	v_and_b32_e32 v2, 64, v18
	v_add_u32_e32 v19, 64, v2
	v_xor_b32_e32 v2, 32, v18
	v_cmp_lt_i32_e32 vcc, v2, v19
	v_cndmask_b32_e32 v2, v18, v2, vcc
	v_lshlrev_b32_e32 v8, 2, v2
	v_xor_b32_e32 v2, 16, v18
	v_cmp_lt_i32_e32 vcc, v2, v19
	v_cndmask_b32_e32 v2, v18, v2, vcc
	v_lshlrev_b32_e32 v34, 2, v2
	;; [unrolled: 4-line block ×3, first 2 shown]
	v_cvt_f32_f16_e32 v2, v64
	v_cvt_f32_f16_e32 v3, v65
	v_cvt_f32_f16_sdwa v6, v64 dst_sel:DWORD dst_unused:UNUSED_PAD src0_sel:WORD_1
	v_cvt_f32_f16_sdwa v7, v65 dst_sel:DWORD dst_unused:UNUSED_PAD src0_sel:WORD_1
	v_xor_b32_e32 v14, 4, v18
	v_cmp_lt_i32_e32 vcc, v14, v19
	v_cndmask_b32_e32 v14, v18, v14, vcc
	v_pk_add_f32 v[2:3], v[2:3], v[6:7]
	v_lshlrev_b32_e32 v36, 2, v14
	v_xor_b32_e32 v14, 2, v18
	ds_bpermute_b32 v6, v8, v2
	ds_bpermute_b32 v7, v8, v3
	v_cmp_lt_i32_e32 vcc, v14, v19
	v_cndmask_b32_e32 v20, v18, v14, vcc
	v_cvt_f32_f16_e32 v14, v66
	v_lshlrev_b32_e32 v37, 2, v20
	s_waitcnt lgkmcnt(0)
	v_pk_add_f32 v[2:3], v[2:3], v[6:7]
	ds_bpermute_b32 v6, v34, v2
	v_pk_add_f32 v[14:15], v[14:15], v[16:17]
	ds_bpermute_b32 v7, v34, v3
	ds_bpermute_b32 v16, v8, v14
	;; [unrolled: 1-line block ×3, first 2 shown]
	v_cvt_f32_f16_e32 v20, v23
	v_cvt_f32_f16_sdwa v22, v23 dst_sel:DWORD dst_unused:UNUSED_PAD src0_sel:WORD_1
	s_waitcnt lgkmcnt(2)
	v_pk_add_f32 v[2:3], v[2:3], v[6:7]
	ds_bpermute_b32 v6, v35, v2
	s_waitcnt lgkmcnt(1)
	v_pk_add_f32 v[14:15], v[14:15], v[16:17]
	ds_bpermute_b32 v7, v35, v3
	ds_bpermute_b32 v16, v34, v14
	;; [unrolled: 1-line block ×3, first 2 shown]
	v_cvt_f32_f16_sdwa v23, v24 dst_sel:DWORD dst_unused:UNUSED_PAD src0_sel:WORD_1
	v_pk_fma_f16 v10, v59, v5, v10
	s_waitcnt lgkmcnt(2)
	v_pk_add_f32 v[2:3], v[2:3], v[6:7]
	ds_bpermute_b32 v6, v36, v2
	s_waitcnt lgkmcnt(1)
	v_pk_add_f32 v[14:15], v[14:15], v[16:17]
	v_pk_add_f32 v[20:21], v[20:21], v[22:23]
	ds_bpermute_b32 v7, v36, v3
	ds_bpermute_b32 v16, v35, v14
	;; [unrolled: 1-line block ×5, first 2 shown]
	s_waitcnt lgkmcnt(4)
	v_pk_add_f32 v[2:3], v[2:3], v[6:7]
	v_pk_fma_f16 v9, v9, v5, v4
	s_waitcnt lgkmcnt(2)
	v_pk_add_f32 v[6:7], v[14:15], v[16:17]
	ds_bpermute_b32 v14, v36, v6
	s_waitcnt lgkmcnt(1)
	v_pk_add_f32 v[16:17], v[20:21], v[22:23]
	ds_bpermute_b32 v15, v36, v7
	ds_bpermute_b32 v20, v34, v16
	;; [unrolled: 1-line block ×5, first 2 shown]
	s_waitcnt lgkmcnt(4)
	v_pk_add_f32 v[14:15], v[6:7], v[14:15]
	ds_bpermute_b32 v24, v37, v14
	s_waitcnt lgkmcnt(3)
	v_pk_add_f32 v[6:7], v[16:17], v[20:21]
	v_cvt_f32_f16_e32 v20, v25
	v_cvt_f32_f16_e32 v21, v27
	v_cvt_f32_f16_sdwa v27, v27 dst_sel:DWORD dst_unused:UNUSED_PAD src0_sel:WORD_1
	ds_bpermute_b32 v16, v35, v6
	ds_bpermute_b32 v17, v35, v7
	;; [unrolled: 1-line block ×3, first 2 shown]
	v_pk_add_f32 v[20:21], v[20:21], v[26:27]
	ds_bpermute_b32 v26, v8, v20
	ds_bpermute_b32 v27, v8, v21
	s_waitcnt lgkmcnt(3)
	v_pk_add_f32 v[6:7], v[6:7], v[16:17]
	ds_bpermute_b32 v16, v36, v6
	ds_bpermute_b32 v17, v36, v7
	s_waitcnt lgkmcnt(4)
	v_pk_add_f32 v[4:5], v[14:15], v[24:25]
	s_waitcnt lgkmcnt(2)
	v_pk_add_f32 v[20:21], v[20:21], v[26:27]
	ds_bpermute_b32 v26, v34, v20
	ds_bpermute_b32 v27, v34, v21
	s_waitcnt lgkmcnt(2)
	v_pk_add_f32 v[16:17], v[6:7], v[16:17]
	ds_bpermute_b32 v28, v37, v16
	ds_bpermute_b32 v29, v37, v17
	v_pk_add_f32 v[6:7], v[2:3], v[22:23]
	s_waitcnt lgkmcnt(2)
	v_pk_add_f32 v[14:15], v[20:21], v[26:27]
	v_cvt_f32_f16_e32 v20, v30
	v_cvt_f32_f16_e32 v21, v31
	v_cvt_f32_f16_sdwa v22, v30 dst_sel:DWORD dst_unused:UNUSED_PAD src0_sel:WORD_1
	v_cvt_f32_f16_sdwa v23, v31 dst_sel:DWORD dst_unused:UNUSED_PAD src0_sel:WORD_1
	s_waitcnt lgkmcnt(0)
	v_pk_add_f32 v[2:3], v[16:17], v[28:29]
	ds_bpermute_b32 v16, v35, v14
	ds_bpermute_b32 v17, v35, v15
	v_pk_add_f32 v[20:21], v[20:21], v[22:23]
	ds_bpermute_b32 v22, v8, v20
	ds_bpermute_b32 v23, v8, v21
	v_cvt_f32_f16_e32 v24, v13
	v_cvt_f32_f16_e32 v25, v32
	v_cvt_f32_f16_sdwa v26, v13 dst_sel:DWORD dst_unused:UNUSED_PAD src0_sel:WORD_1
	v_cvt_f32_f16_sdwa v27, v32 dst_sel:DWORD dst_unused:UNUSED_PAD src0_sel:WORD_1
	s_waitcnt lgkmcnt(2)
	v_pk_add_f32 v[14:15], v[14:15], v[16:17]
	s_waitcnt lgkmcnt(0)
	v_pk_add_f32 v[20:21], v[20:21], v[22:23]
	ds_bpermute_b32 v16, v36, v14
	v_pk_add_f32 v[24:25], v[24:25], v[26:27]
	ds_bpermute_b32 v17, v36, v15
	ds_bpermute_b32 v22, v34, v20
	;; [unrolled: 1-line block ×5, first 2 shown]
	s_waitcnt lgkmcnt(4)
	v_pk_add_f32 v[14:15], v[14:15], v[16:17]
	v_cvt_f32_f16_sdwa v30, v11 dst_sel:DWORD dst_unused:UNUSED_PAD src0_sel:WORD_1
	s_waitcnt lgkmcnt(2)
	v_pk_add_f32 v[16:17], v[20:21], v[22:23]
	ds_bpermute_b32 v20, v35, v16
	s_waitcnt lgkmcnt(1)
	v_pk_add_f32 v[22:23], v[24:25], v[26:27]
	ds_bpermute_b32 v21, v35, v17
	ds_bpermute_b32 v24, v34, v22
	;; [unrolled: 1-line block ×3, first 2 shown]
	v_cvt_f32_f16_sdwa v31, v12 dst_sel:DWORD dst_unused:UNUSED_PAD src0_sel:WORD_1
	v_cvt_f32_f16_e32 v13, v9
	s_waitcnt lgkmcnt(2)
	v_pk_add_f32 v[16:17], v[16:17], v[20:21]
	ds_bpermute_b32 v20, v36, v16
	s_waitcnt lgkmcnt(1)
	v_pk_add_f32 v[22:23], v[22:23], v[24:25]
	ds_bpermute_b32 v21, v36, v17
	ds_bpermute_b32 v24, v35, v22
	;; [unrolled: 1-line block ×5, first 2 shown]
	s_waitcnt lgkmcnt(4)
	v_pk_add_f32 v[20:21], v[16:17], v[20:21]
	ds_bpermute_b32 v28, v37, v20
	s_waitcnt lgkmcnt(3)
	v_pk_add_f32 v[16:17], v[22:23], v[24:25]
	v_cvt_f32_f16_e32 v24, v11
	v_cvt_f32_f16_e32 v25, v12
	;; [unrolled: 1-line block ×3, first 2 shown]
	v_cvt_f32_f16_sdwa v10, v10 dst_sel:DWORD dst_unused:UNUSED_PAD src0_sel:WORD_1
	v_cvt_f32_f16_sdwa v11, v9 dst_sel:DWORD dst_unused:UNUSED_PAD src0_sel:WORD_1
	v_pk_add_f32 v[24:25], v[24:25], v[30:31]
	ds_bpermute_b32 v30, v8, v24
	ds_bpermute_b32 v31, v8, v25
	v_pk_add_f32 v[10:11], v[12:13], v[10:11]
	ds_bpermute_b32 v12, v8, v10
	ds_bpermute_b32 v13, v8, v11
	ds_bpermute_b32 v22, v36, v16
	s_waitcnt lgkmcnt(3)
	v_pk_add_f32 v[8:9], v[24:25], v[30:31]
	ds_bpermute_b32 v24, v34, v8
	ds_bpermute_b32 v25, v34, v9
	s_waitcnt lgkmcnt(3)
	v_pk_add_f32 v[10:11], v[10:11], v[12:13]
	ds_bpermute_b32 v12, v34, v10
	ds_bpermute_b32 v13, v34, v11
	;; [unrolled: 1-line block ×3, first 2 shown]
	s_waitcnt lgkmcnt(3)
	v_pk_add_f32 v[8:9], v[8:9], v[24:25]
	ds_bpermute_b32 v29, v37, v21
	s_waitcnt lgkmcnt(2)
	v_pk_add_f32 v[10:11], v[10:11], v[12:13]
	s_waitcnt lgkmcnt(1)
	v_pk_add_f32 v[22:23], v[16:17], v[22:23]
	ds_bpermute_b32 v16, v35, v8
	ds_bpermute_b32 v17, v35, v9
	;; [unrolled: 1-line block ×6, first 2 shown]
	s_waitcnt lgkmcnt(4)
	v_pk_add_f32 v[8:9], v[8:9], v[16:17]
	ds_bpermute_b32 v16, v36, v8
	s_waitcnt lgkmcnt(3)
	v_pk_add_f32 v[10:11], v[10:11], v[12:13]
	ds_bpermute_b32 v17, v36, v9
	ds_bpermute_b32 v12, v36, v10
	;; [unrolled: 1-line block ×3, first 2 shown]
	s_waitcnt lgkmcnt(2)
	v_pk_add_f32 v[8:9], v[8:9], v[16:17]
	ds_bpermute_b32 v30, v37, v8
	s_waitcnt lgkmcnt(1)
	v_pk_add_f32 v[12:13], v[10:11], v[12:13]
	ds_bpermute_b32 v31, v37, v9
	ds_bpermute_b32 v32, v37, v12
	;; [unrolled: 1-line block ×3, first 2 shown]
	v_pk_add_f32 v[16:17], v[14:15], v[26:27]
	v_pk_add_f32 v[14:15], v[20:21], v[28:29]
	v_xor_b32_e32 v20, 1, v18
	v_cmp_lt_i32_e32 vcc, v20, v19
	v_cndmask_b32_e32 v18, v18, v20, vcc
	v_pk_add_f32 v[10:11], v[22:23], v[24:25]
	s_waitcnt lgkmcnt(2)
	v_pk_add_f32 v[8:9], v[8:9], v[30:31]
	s_waitcnt lgkmcnt(0)
	v_pk_add_f32 v[12:13], v[12:13], v[32:33]
	v_lshlrev_b32_e32 v38, 2, v18
	ds_bpermute_b32 v32, v38, v6
	ds_bpermute_b32 v33, v38, v7
	;; [unrolled: 1-line block ×16, first 2 shown]
	v_cmp_gt_u32_e32 vcc, 16, v39
	s_and_saveexec_b64 s[0:1], vcc
	s_cbranch_execz .LBB3_2
; %bb.1:
	s_waitcnt lgkmcnt(14)
	v_pk_add_f32 v[6:7], v[6:7], v[32:33]
	v_cmp_eq_u32_e32 vcc, 1, v39
	s_waitcnt lgkmcnt(12)
	v_pk_add_f32 v[4:5], v[4:5], v[30:31]
	v_cndmask_b32_e32 v6, v6, v7, vcc
	v_cmp_eq_u32_e32 vcc, 2, v39
	v_cndmask_b32_e32 v4, v6, v4, vcc
	v_cmp_eq_u32_e32 vcc, 3, v39
	s_waitcnt lgkmcnt(10)
	v_pk_add_f32 v[2:3], v[2:3], v[28:29]
	v_cndmask_b32_e32 v4, v4, v5, vcc
	v_cmp_eq_u32_e32 vcc, 4, v39
	v_cndmask_b32_e32 v2, v4, v2, vcc
	;; [unrolled: 6-line block ×6, first 2 shown]
	v_cmp_eq_u32_e32 vcc, 13, v39
	s_waitcnt lgkmcnt(0)
	v_pk_add_f32 v[12:13], v[12:13], v[22:23]
	v_lshrrev_b32_e32 v18, 4, v0
	v_cndmask_b32_e32 v2, v2, v9, vcc
	v_cmp_eq_u32_e32 vcc, 14, v39
	v_and_b32_e32 v18, 60, v18
	v_cndmask_b32_e32 v2, v2, v12, vcc
	v_cmp_eq_u32_e32 vcc, 15, v39
	v_lshl_or_b32 v18, v39, 8, v18
	v_cndmask_b32_e32 v2, v2, v13, vcc
	ds_write_b32 v18, v2
.LBB3_2:
	s_or_b64 exec, exec, s[0:1]
	s_movk_i32 s0, 0x100
	v_cmp_gt_u32_e32 vcc, s0, v0
	s_waitcnt lgkmcnt(0)
	s_barrier
	s_and_saveexec_b64 s[0:1], vcc
	s_cbranch_execz .LBB3_7
; %bb.3:
	s_lshr_b32 s0, s7, 6
	v_and_b32_e32 v3, 15, v0
	v_cmp_gt_u32_e32 vcc, s0, v3
	v_mov_b32_e32 v2, 0
	s_and_saveexec_b64 s[0:1], vcc
	s_cbranch_execz .LBB3_5
; %bb.4:
	v_lshlrev_b32_e32 v2, 2, v3
	s_movk_i32 s2, 0x3f00
	v_and_or_b32 v1, v1, s2, v2
	ds_read_b32 v2, v1
.LBB3_5:
	s_or_b64 exec, exec, s[0:1]
	s_waitcnt lgkmcnt(0)
	ds_bpermute_b32 v1, v35, v2
	v_and_b32_e32 v3, 31, v0
	v_cmp_eq_u32_e32 vcc, 0, v3
	s_waitcnt lgkmcnt(0)
	v_add_f32_e32 v1, v2, v1
	ds_bpermute_b32 v2, v36, v1
	s_waitcnt lgkmcnt(0)
	v_add_f32_e32 v1, v1, v2
	ds_bpermute_b32 v2, v37, v1
	;; [unrolled: 3-line block ×4, first 2 shown]
	s_and_b64 exec, exec, vcc
	s_cbranch_execz .LBB3_7
; %bb.6:
	v_mul_f32_e32 v3, 0xbfb8aa3b, v1
	s_mov_b32 s0, 0xbfb8aa3b
	v_rndne_f32_e32 v4, v3
	v_sub_f32_e32 v5, v3, v4
	v_fma_f32 v3, v1, s0, -v3
	v_fmac_f32_e32 v3, 0xb2a5705f, v1
	v_add_f32_e32 v3, v5, v3
	v_exp_f32_e32 v3, v3
	v_cvt_i32_f32_e32 v4, v4
	s_mov_b32 s0, 0x42ce8ed0
	v_cmp_nlt_f32_e32 vcc, s0, v1
	s_mov_b32 s0, 0xc2b17218
	v_ldexp_f32 v3, v3, v4
	v_cndmask_b32_e32 v3, 0, v3, vcc
	v_mov_b32_e32 v4, 0x7f800000
	v_cmp_ngt_f32_e32 vcc, s0, v1
	v_cndmask_b32_e32 v3, v4, v3, vcc
	v_add_f32_e32 v3, 1.0, v3
	v_div_scale_f32 v4, s[0:1], v3, v3, v1
	v_rcp_f32_e32 v5, v4
	s_load_dwordx2 s[0:1], s[4:5], 0x10
	v_lshrrev_b32_e32 v0, 5, v0
	v_or_b32_e32 v0, s6, v0
	v_fma_f32 v6, -v4, v5, 1.0
	v_fmac_f32_e32 v5, v6, v5
	v_div_scale_f32 v6, vcc, v1, v3, v1
	v_mul_f32_e32 v7, v6, v5
	v_fma_f32 v8, -v4, v7, v6
	v_fmac_f32_e32 v7, v8, v5
	v_fma_f32 v4, -v4, v7, v6
	v_div_fmas_f32 v4, v4, v5, v7
	v_div_fixup_f32 v1, v4, v3, v1
	s_waitcnt lgkmcnt(0)
	v_fma_mixlo_f16 v1, v1, v2, 0
	v_lshlrev_b32_e32 v0, 1, v0
	global_store_short v0, v1, s[0:1]
.LBB3_7:
	s_endpgm
	.section	.rodata,"a",@progbits
	.p2align	6, 0x0
	.amdhsa_kernel _Z18LLGemm_Silu_kernelILi16EEvP15HIP_vector_typeIfLj4EEP7__half2PDF16_i
		.amdhsa_group_segment_fixed_size 4096
		.amdhsa_private_segment_fixed_size 0
		.amdhsa_kernarg_size 288
		.amdhsa_user_sgpr_count 6
		.amdhsa_user_sgpr_private_segment_buffer 1
		.amdhsa_user_sgpr_dispatch_ptr 0
		.amdhsa_user_sgpr_queue_ptr 0
		.amdhsa_user_sgpr_kernarg_segment_ptr 1
		.amdhsa_user_sgpr_dispatch_id 0
		.amdhsa_user_sgpr_flat_scratch_init 0
		.amdhsa_user_sgpr_kernarg_preload_length 0
		.amdhsa_user_sgpr_kernarg_preload_offset 0
		.amdhsa_user_sgpr_private_segment_size 0
		.amdhsa_uses_dynamic_stack 0
		.amdhsa_system_sgpr_private_segment_wavefront_offset 0
		.amdhsa_system_sgpr_workgroup_id_x 1
		.amdhsa_system_sgpr_workgroup_id_y 0
		.amdhsa_system_sgpr_workgroup_id_z 0
		.amdhsa_system_sgpr_workgroup_info 0
		.amdhsa_system_vgpr_workitem_id 0
		.amdhsa_next_free_vgpr 67
		.amdhsa_next_free_sgpr 10
		.amdhsa_accum_offset 68
		.amdhsa_reserve_vcc 1
		.amdhsa_reserve_flat_scratch 0
		.amdhsa_float_round_mode_32 0
		.amdhsa_float_round_mode_16_64 0
		.amdhsa_float_denorm_mode_32 3
		.amdhsa_float_denorm_mode_16_64 3
		.amdhsa_dx10_clamp 1
		.amdhsa_ieee_mode 1
		.amdhsa_fp16_overflow 0
		.amdhsa_tg_split 0
		.amdhsa_exception_fp_ieee_invalid_op 0
		.amdhsa_exception_fp_denorm_src 0
		.amdhsa_exception_fp_ieee_div_zero 0
		.amdhsa_exception_fp_ieee_overflow 0
		.amdhsa_exception_fp_ieee_underflow 0
		.amdhsa_exception_fp_ieee_inexact 0
		.amdhsa_exception_int_div_zero 0
	.end_amdhsa_kernel
	.section	.text._Z18LLGemm_Silu_kernelILi16EEvP15HIP_vector_typeIfLj4EEP7__half2PDF16_i,"axG",@progbits,_Z18LLGemm_Silu_kernelILi16EEvP15HIP_vector_typeIfLj4EEP7__half2PDF16_i,comdat
.Lfunc_end3:
	.size	_Z18LLGemm_Silu_kernelILi16EEvP15HIP_vector_typeIfLj4EEP7__half2PDF16_i, .Lfunc_end3-_Z18LLGemm_Silu_kernelILi16EEvP15HIP_vector_typeIfLj4EEP7__half2PDF16_i
                                        ; -- End function
	.section	.AMDGPU.csdata,"",@progbits
; Kernel info:
; codeLenInByte = 3416
; NumSgprs: 14
; NumVgprs: 67
; NumAgprs: 0
; TotalNumVgprs: 67
; ScratchSize: 0
; MemoryBound: 0
; FloatMode: 240
; IeeeMode: 1
; LDSByteSize: 4096 bytes/workgroup (compile time only)
; SGPRBlocks: 1
; VGPRBlocks: 8
; NumSGPRsForWavesPerEU: 14
; NumVGPRsForWavesPerEU: 67
; AccumOffset: 68
; Occupancy: 7
; WaveLimiterHint : 0
; COMPUTE_PGM_RSRC2:SCRATCH_EN: 0
; COMPUTE_PGM_RSRC2:USER_SGPR: 6
; COMPUTE_PGM_RSRC2:TRAP_HANDLER: 0
; COMPUTE_PGM_RSRC2:TGID_X_EN: 1
; COMPUTE_PGM_RSRC2:TGID_Y_EN: 0
; COMPUTE_PGM_RSRC2:TGID_Z_EN: 0
; COMPUTE_PGM_RSRC2:TIDIG_COMP_CNT: 0
; COMPUTE_PGM_RSRC3_GFX90A:ACCUM_OFFSET: 16
; COMPUTE_PGM_RSRC3_GFX90A:TG_SPLIT: 0
	.text
	.p2alignl 6, 3212836864
	.fill 256, 4, 3212836864
	.type	__hip_cuid_929b7d913b400fb3,@object ; @__hip_cuid_929b7d913b400fb3
	.section	.bss,"aw",@nobits
	.globl	__hip_cuid_929b7d913b400fb3
__hip_cuid_929b7d913b400fb3:
	.byte	0                               ; 0x0
	.size	__hip_cuid_929b7d913b400fb3, 1

	.ident	"AMD clang version 19.0.0git (https://github.com/RadeonOpenCompute/llvm-project roc-6.4.0 25133 c7fe45cf4b819c5991fe208aaa96edf142730f1d)"
	.section	".note.GNU-stack","",@progbits
	.addrsig
	.addrsig_sym __hip_cuid_929b7d913b400fb3
	.amdgpu_metadata
---
amdhsa.kernels:
  - .agpr_count:     0
    .args:
      - .address_space:  global
        .offset:         0
        .size:           8
        .value_kind:     global_buffer
      - .address_space:  global
        .offset:         8
        .size:           8
        .value_kind:     global_buffer
      - .address_space:  global
        .offset:         16
        .size:           8
        .value_kind:     global_buffer
      - .offset:         24
        .size:           4
        .value_kind:     by_value
      - .offset:         32
        .size:           4
        .value_kind:     hidden_block_count_x
      - .offset:         36
        .size:           4
        .value_kind:     hidden_block_count_y
      - .offset:         40
        .size:           4
        .value_kind:     hidden_block_count_z
      - .offset:         44
        .size:           2
        .value_kind:     hidden_group_size_x
      - .offset:         46
        .size:           2
        .value_kind:     hidden_group_size_y
      - .offset:         48
        .size:           2
        .value_kind:     hidden_group_size_z
      - .offset:         50
        .size:           2
        .value_kind:     hidden_remainder_x
      - .offset:         52
        .size:           2
        .value_kind:     hidden_remainder_y
      - .offset:         54
        .size:           2
        .value_kind:     hidden_remainder_z
      - .offset:         72
        .size:           8
        .value_kind:     hidden_global_offset_x
      - .offset:         80
        .size:           8
        .value_kind:     hidden_global_offset_y
      - .offset:         88
        .size:           8
        .value_kind:     hidden_global_offset_z
      - .offset:         96
        .size:           2
        .value_kind:     hidden_grid_dims
    .group_segment_fixed_size: 512
    .kernarg_segment_align: 8
    .kernarg_segment_size: 288
    .language:       OpenCL C
    .language_version:
      - 2
      - 0
    .max_flat_workgroup_size: 1024
    .name:           _Z18LLGemm_Silu_kernelILi2EEvP15HIP_vector_typeIfLj4EEP7__half2PDF16_i
    .private_segment_fixed_size: 0
    .sgpr_count:     16
    .sgpr_spill_count: 0
    .symbol:         _Z18LLGemm_Silu_kernelILi2EEvP15HIP_vector_typeIfLj4EEP7__half2PDF16_i.kd
    .uniform_work_group_size: 1
    .uses_dynamic_stack: false
    .vgpr_count:     17
    .vgpr_spill_count: 0
    .wavefront_size: 64
  - .agpr_count:     0
    .args:
      - .address_space:  global
        .offset:         0
        .size:           8
        .value_kind:     global_buffer
      - .address_space:  global
        .offset:         8
        .size:           8
        .value_kind:     global_buffer
      - .address_space:  global
        .offset:         16
        .size:           8
        .value_kind:     global_buffer
      - .offset:         24
        .size:           4
        .value_kind:     by_value
      - .offset:         32
        .size:           4
        .value_kind:     hidden_block_count_x
      - .offset:         36
        .size:           4
        .value_kind:     hidden_block_count_y
      - .offset:         40
        .size:           4
        .value_kind:     hidden_block_count_z
      - .offset:         44
        .size:           2
        .value_kind:     hidden_group_size_x
      - .offset:         46
        .size:           2
        .value_kind:     hidden_group_size_y
      - .offset:         48
        .size:           2
        .value_kind:     hidden_group_size_z
      - .offset:         50
        .size:           2
        .value_kind:     hidden_remainder_x
      - .offset:         52
        .size:           2
        .value_kind:     hidden_remainder_y
      - .offset:         54
        .size:           2
        .value_kind:     hidden_remainder_z
      - .offset:         72
        .size:           8
        .value_kind:     hidden_global_offset_x
      - .offset:         80
        .size:           8
        .value_kind:     hidden_global_offset_y
      - .offset:         88
        .size:           8
        .value_kind:     hidden_global_offset_z
      - .offset:         96
        .size:           2
        .value_kind:     hidden_grid_dims
    .group_segment_fixed_size: 1024
    .kernarg_segment_align: 8
    .kernarg_segment_size: 288
    .language:       OpenCL C
    .language_version:
      - 2
      - 0
    .max_flat_workgroup_size: 1024
    .name:           _Z18LLGemm_Silu_kernelILi4EEvP15HIP_vector_typeIfLj4EEP7__half2PDF16_i
    .private_segment_fixed_size: 0
    .sgpr_count:     15
    .sgpr_spill_count: 0
    .symbol:         _Z18LLGemm_Silu_kernelILi4EEvP15HIP_vector_typeIfLj4EEP7__half2PDF16_i.kd
    .uniform_work_group_size: 1
    .uses_dynamic_stack: false
    .vgpr_count:     30
    .vgpr_spill_count: 0
    .wavefront_size: 64
  - .agpr_count:     0
    .args:
      - .address_space:  global
        .offset:         0
        .size:           8
        .value_kind:     global_buffer
      - .address_space:  global
        .offset:         8
        .size:           8
        .value_kind:     global_buffer
      - .address_space:  global
        .offset:         16
        .size:           8
        .value_kind:     global_buffer
      - .offset:         24
        .size:           4
        .value_kind:     by_value
      - .offset:         32
        .size:           4
        .value_kind:     hidden_block_count_x
      - .offset:         36
        .size:           4
        .value_kind:     hidden_block_count_y
      - .offset:         40
        .size:           4
        .value_kind:     hidden_block_count_z
      - .offset:         44
        .size:           2
        .value_kind:     hidden_group_size_x
      - .offset:         46
        .size:           2
        .value_kind:     hidden_group_size_y
      - .offset:         48
        .size:           2
        .value_kind:     hidden_group_size_z
      - .offset:         50
        .size:           2
        .value_kind:     hidden_remainder_x
      - .offset:         52
        .size:           2
        .value_kind:     hidden_remainder_y
      - .offset:         54
        .size:           2
        .value_kind:     hidden_remainder_z
      - .offset:         72
        .size:           8
        .value_kind:     hidden_global_offset_x
      - .offset:         80
        .size:           8
        .value_kind:     hidden_global_offset_y
      - .offset:         88
        .size:           8
        .value_kind:     hidden_global_offset_z
      - .offset:         96
        .size:           2
        .value_kind:     hidden_grid_dims
    .group_segment_fixed_size: 2048
    .kernarg_segment_align: 8
    .kernarg_segment_size: 288
    .language:       OpenCL C
    .language_version:
      - 2
      - 0
    .max_flat_workgroup_size: 1024
    .name:           _Z18LLGemm_Silu_kernelILi8EEvP15HIP_vector_typeIfLj4EEP7__half2PDF16_i
    .private_segment_fixed_size: 0
    .sgpr_count:     14
    .sgpr_spill_count: 0
    .symbol:         _Z18LLGemm_Silu_kernelILi8EEvP15HIP_vector_typeIfLj4EEP7__half2PDF16_i.kd
    .uniform_work_group_size: 1
    .uses_dynamic_stack: false
    .vgpr_count:     38
    .vgpr_spill_count: 0
    .wavefront_size: 64
  - .agpr_count:     0
    .args:
      - .address_space:  global
        .offset:         0
        .size:           8
        .value_kind:     global_buffer
      - .address_space:  global
        .offset:         8
        .size:           8
        .value_kind:     global_buffer
      - .address_space:  global
        .offset:         16
        .size:           8
        .value_kind:     global_buffer
      - .offset:         24
        .size:           4
        .value_kind:     by_value
      - .offset:         32
        .size:           4
        .value_kind:     hidden_block_count_x
      - .offset:         36
        .size:           4
        .value_kind:     hidden_block_count_y
      - .offset:         40
        .size:           4
        .value_kind:     hidden_block_count_z
      - .offset:         44
        .size:           2
        .value_kind:     hidden_group_size_x
      - .offset:         46
        .size:           2
        .value_kind:     hidden_group_size_y
      - .offset:         48
        .size:           2
        .value_kind:     hidden_group_size_z
      - .offset:         50
        .size:           2
        .value_kind:     hidden_remainder_x
      - .offset:         52
        .size:           2
        .value_kind:     hidden_remainder_y
      - .offset:         54
        .size:           2
        .value_kind:     hidden_remainder_z
      - .offset:         72
        .size:           8
        .value_kind:     hidden_global_offset_x
      - .offset:         80
        .size:           8
        .value_kind:     hidden_global_offset_y
      - .offset:         88
        .size:           8
        .value_kind:     hidden_global_offset_z
      - .offset:         96
        .size:           2
        .value_kind:     hidden_grid_dims
    .group_segment_fixed_size: 4096
    .kernarg_segment_align: 8
    .kernarg_segment_size: 288
    .language:       OpenCL C
    .language_version:
      - 2
      - 0
    .max_flat_workgroup_size: 1024
    .name:           _Z18LLGemm_Silu_kernelILi16EEvP15HIP_vector_typeIfLj4EEP7__half2PDF16_i
    .private_segment_fixed_size: 0
    .sgpr_count:     14
    .sgpr_spill_count: 0
    .symbol:         _Z18LLGemm_Silu_kernelILi16EEvP15HIP_vector_typeIfLj4EEP7__half2PDF16_i.kd
    .uniform_work_group_size: 1
    .uses_dynamic_stack: false
    .vgpr_count:     67
    .vgpr_spill_count: 0
    .wavefront_size: 64
amdhsa.target:   amdgcn-amd-amdhsa--gfx90a
amdhsa.version:
  - 1
  - 2
...

	.end_amdgpu_metadata
